;; amdgpu-corpus repo=ROCm/rocFFT kind=compiled arch=gfx906 opt=O3
	.text
	.amdgcn_target "amdgcn-amd-amdhsa--gfx906"
	.amdhsa_code_object_version 6
	.protected	bluestein_single_fwd_len48_dim1_dp_op_CI_CI ; -- Begin function bluestein_single_fwd_len48_dim1_dp_op_CI_CI
	.globl	bluestein_single_fwd_len48_dim1_dp_op_CI_CI
	.p2align	8
	.type	bluestein_single_fwd_len48_dim1_dp_op_CI_CI,@function
bluestein_single_fwd_len48_dim1_dp_op_CI_CI: ; @bluestein_single_fwd_len48_dim1_dp_op_CI_CI
; %bb.0:
	s_load_dwordx4 s[0:3], s[4:5], 0x28
	v_lshrrev_b32_e32 v1, 4, v0
	v_lshl_or_b32 v36, s6, 2, v1
	v_mov_b32_e32 v37, 0
	s_waitcnt lgkmcnt(0)
	v_cmp_gt_u64_e32 vcc, s[0:1], v[36:37]
	s_and_saveexec_b64 s[0:1], vcc
	s_cbranch_execz .LBB0_23
; %bb.1:
	s_load_dwordx2 s[14:15], s[4:5], 0x0
	s_load_dwordx2 s[12:13], s[4:5], 0x38
	v_and_b32_e32 v41, 15, v0
	v_mul_u32_u24_e32 v42, 48, v1
	v_cmp_gt_u32_e32 vcc, 12, v41
	v_lshlrev_b32_e32 v43, 4, v41
	v_or_b32_e32 v16, v42, v41
	s_and_saveexec_b64 s[6:7], vcc
	s_cbranch_execz .LBB0_3
; %bb.2:
	s_load_dwordx2 s[0:1], s[4:5], 0x18
	s_waitcnt lgkmcnt(0)
	s_load_dwordx4 s[8:11], s[0:1], 0x0
	s_waitcnt lgkmcnt(0)
	v_mad_u64_u32 v[0:1], s[0:1], s10, v36, 0
	v_mad_u64_u32 v[2:3], s[0:1], s8, v41, 0
	;; [unrolled: 1-line block ×4, first 2 shown]
	v_mov_b32_e32 v1, v4
	v_lshlrev_b64 v[0:1], 4, v[0:1]
	v_mov_b32_e32 v3, v5
	v_mov_b32_e32 v6, s3
	v_lshlrev_b64 v[2:3], 4, v[2:3]
	v_add_co_u32_e64 v0, s[0:1], s2, v0
	v_addc_co_u32_e64 v1, s[0:1], v6, v1, s[0:1]
	v_add_co_u32_e64 v17, s[0:1], v0, v2
	v_addc_co_u32_e64 v18, s[0:1], v1, v3, s[0:1]
	s_mul_i32 s0, s9, 0xc0
	s_mul_hi_u32 s1, s8, 0xc0
	s_add_i32 s2, s1, s0
	s_mul_i32 s3, s8, 0xc0
	v_mov_b32_e32 v0, s2
	v_add_co_u32_e64 v19, s[0:1], s3, v17
	v_addc_co_u32_e64 v20, s[0:1], v18, v0, s[0:1]
	global_load_dwordx4 v[0:3], v43, s[14:15]
	global_load_dwordx4 v[4:7], v43, s[14:15] offset:192
	global_load_dwordx4 v[8:11], v[17:18], off
	global_load_dwordx4 v[12:15], v[19:20], off
	v_mov_b32_e32 v17, s2
	v_add_co_u32_e64 v29, s[0:1], s3, v19
	v_addc_co_u32_e64 v30, s[0:1], v20, v17, s[0:1]
	global_load_dwordx4 v[17:20], v[29:30], off
	global_load_dwordx4 v[21:24], v43, s[14:15] offset:384
	global_load_dwordx4 v[25:28], v43, s[14:15] offset:576
	v_mov_b32_e32 v31, s2
	v_add_co_u32_e64 v29, s[0:1], s3, v29
	v_addc_co_u32_e64 v30, s[0:1], v30, v31, s[0:1]
	global_load_dwordx4 v[29:32], v[29:30], off
	s_waitcnt vmcnt(5)
	v_mul_f64 v[33:34], v[10:11], v[2:3]
	v_mul_f64 v[2:3], v[8:9], v[2:3]
	s_waitcnt vmcnt(4)
	v_mul_f64 v[37:38], v[14:15], v[6:7]
	v_mul_f64 v[39:40], v[12:13], v[6:7]
	s_waitcnt vmcnt(2)
	v_mul_f64 v[44:45], v[19:20], v[23:24]
	v_mul_f64 v[23:24], v[17:18], v[23:24]
	v_fma_f64 v[6:7], v[8:9], v[0:1], v[33:34]
	v_fma_f64 v[8:9], v[10:11], v[0:1], -v[2:3]
	v_fma_f64 v[0:1], v[12:13], v[4:5], v[37:38]
	v_fma_f64 v[2:3], v[14:15], v[4:5], -v[39:40]
	v_lshlrev_b32_e32 v4, 4, v16
	s_waitcnt vmcnt(0)
	v_mul_f64 v[46:47], v[31:32], v[27:28]
	v_mul_f64 v[27:28], v[29:30], v[27:28]
	v_fma_f64 v[10:11], v[17:18], v[21:22], v[44:45]
	v_fma_f64 v[12:13], v[19:20], v[21:22], -v[23:24]
	ds_write_b128 v4, v[6:9]
	v_lshl_add_u32 v4, v42, 4, v43
	v_fma_f64 v[17:18], v[29:30], v[25:26], v[46:47]
	v_fma_f64 v[19:20], v[31:32], v[25:26], -v[27:28]
	ds_write_b128 v4, v[0:3] offset:192
	ds_write_b128 v4, v[10:13] offset:384
	;; [unrolled: 1-line block ×3, first 2 shown]
.LBB0_3:
	s_or_b64 exec, exec, s[6:7]
	s_load_dwordx2 s[2:3], s[4:5], 0x20
	s_load_dwordx2 s[0:1], s[4:5], 0x8
	v_lshlrev_b32_e32 v44, 4, v42
	s_waitcnt lgkmcnt(0)
	; wave barrier
	s_waitcnt lgkmcnt(0)
                                        ; implicit-def: $vgpr0_vgpr1
                                        ; implicit-def: $vgpr12_vgpr13
                                        ; implicit-def: $vgpr8_vgpr9
                                        ; implicit-def: $vgpr4_vgpr5
	s_and_saveexec_b64 s[4:5], vcc
	s_cbranch_execz .LBB0_5
; %bb.4:
	v_lshlrev_b32_e32 v0, 4, v16
	v_lshl_add_u32 v12, v41, 4, v44
	ds_read_b128 v[0:3], v0
	ds_read_b128 v[4:7], v12 offset:192
	ds_read_b128 v[8:11], v12 offset:384
	;; [unrolled: 1-line block ×3, first 2 shown]
.LBB0_5:
	s_or_b64 exec, exec, s[4:5]
	s_waitcnt lgkmcnt(0)
	v_add_f64 v[8:9], v[0:1], -v[8:9]
	v_add_f64 v[10:11], v[2:3], -v[10:11]
	;; [unrolled: 1-line block ×4, first 2 shown]
	v_lshlrev_b32_e32 v46, 2, v41
	s_waitcnt lgkmcnt(0)
	; wave barrier
	v_add_f64 v[20:21], v[8:9], -v[14:15]
	v_add_f64 v[22:23], v[10:11], v[12:13]
	s_and_saveexec_b64 s[4:5], vcc
	s_cbranch_execz .LBB0_7
; %bb.6:
	v_fma_f64 v[17:18], v[2:3], 2.0, -v[10:11]
	v_fma_f64 v[2:3], v[6:7], 2.0, -v[14:15]
	v_fma_f64 v[14:15], v[0:1], 2.0, -v[8:9]
	v_fma_f64 v[0:1], v[4:5], 2.0, -v[12:13]
	v_fma_f64 v[6:7], v[10:11], 2.0, -v[22:23]
	v_fma_f64 v[4:5], v[8:9], 2.0, -v[20:21]
	v_add_lshl_u32 v12, v42, v46, 4
	v_add_f64 v[2:3], v[17:18], -v[2:3]
	v_add_f64 v[0:1], v[14:15], -v[0:1]
	v_fma_f64 v[10:11], v[17:18], 2.0, -v[2:3]
	v_fma_f64 v[8:9], v[14:15], 2.0, -v[0:1]
	ds_write_b128 v12, v[4:7] offset:16
	ds_write_b128 v12, v[0:3] offset:32
	ds_write_b128 v12, v[8:11]
	ds_write_b128 v12, v[20:23] offset:48
.LBB0_7:
	s_or_b64 exec, exec, s[4:5]
	v_and_b32_e32 v37, 3, v41
	v_lshlrev_b32_e32 v8, 5, v37
	s_load_dwordx4 s[4:7], s[2:3], 0x0
	s_waitcnt lgkmcnt(0)
	; wave barrier
	s_waitcnt lgkmcnt(0)
	global_load_dwordx4 v[4:7], v8, s[0:1]
	global_load_dwordx4 v[0:3], v8, s[0:1] offset:16
	v_lshlrev_b32_e32 v45, 4, v16
	ds_read_b128 v[8:11], v45 offset:256
	ds_read_b128 v[12:15], v45 offset:512
	s_mov_b32 s2, 0xe8584caa
	s_mov_b32 s3, 0x3febb67a
	;; [unrolled: 1-line block ×4, first 2 shown]
	v_lshrrev_b32_e32 v38, 2, v41
	s_waitcnt vmcnt(1) lgkmcnt(1)
	v_mul_f64 v[16:17], v[10:11], v[6:7]
	s_waitcnt vmcnt(0) lgkmcnt(0)
	v_mul_f64 v[18:19], v[14:15], v[2:3]
	v_mul_f64 v[24:25], v[8:9], v[6:7]
	;; [unrolled: 1-line block ×3, first 2 shown]
	v_fma_f64 v[16:17], v[8:9], v[4:5], -v[16:17]
	v_fma_f64 v[12:13], v[12:13], v[0:1], -v[18:19]
	v_fma_f64 v[18:19], v[10:11], v[4:5], v[24:25]
	v_fma_f64 v[14:15], v[14:15], v[0:1], v[26:27]
	ds_read_b128 v[8:11], v45
	s_waitcnt lgkmcnt(0)
	; wave barrier
	s_waitcnt lgkmcnt(0)
	v_add_f64 v[24:25], v[16:17], v[12:13]
	v_add_f64 v[28:29], v[8:9], v[16:17]
	;; [unrolled: 1-line block ×3, first 2 shown]
	v_add_f64 v[30:31], v[18:19], -v[14:15]
	v_add_f64 v[18:19], v[10:11], v[18:19]
	v_add_f64 v[16:17], v[16:17], -v[12:13]
	v_fma_f64 v[8:9], v[24:25], -0.5, v[8:9]
	v_add_f64 v[24:25], v[28:29], v[12:13]
	v_fma_f64 v[10:11], v[26:27], -0.5, v[10:11]
	v_add_f64 v[26:27], v[18:19], v[14:15]
	v_fma_f64 v[28:29], v[30:31], s[2:3], v[8:9]
	v_fma_f64 v[32:33], v[30:31], s[8:9], v[8:9]
	;; [unrolled: 1-line block ×4, first 2 shown]
	v_mul_u32_u24_e32 v8, 12, v38
	v_or_b32_e32 v8, v8, v37
	v_add_lshl_u32 v47, v42, v8, 4
	ds_write_b128 v47, v[24:27]
	ds_write_b128 v47, v[28:31] offset:64
	ds_write_b128 v47, v[32:35] offset:128
	s_waitcnt lgkmcnt(0)
	; wave barrier
	s_waitcnt lgkmcnt(0)
	s_and_saveexec_b64 s[2:3], vcc
	s_cbranch_execz .LBB0_9
; %bb.8:
	ds_read_b128 v[24:27], v45
	ds_read_b128 v[28:31], v45 offset:192
	ds_read_b128 v[32:35], v45 offset:384
	;; [unrolled: 1-line block ×3, first 2 shown]
.LBB0_9:
	s_or_b64 exec, exec, s[2:3]
	v_add_u32_e32 v8, -12, v41
	v_cndmask_b32_e32 v8, v8, v41, vcc
	v_mul_hi_i32_i24_e32 v9, 48, v8
	v_mul_i32_i24_e32 v8, 48, v8
	v_mov_b32_e32 v10, s1
	v_add_co_u32_e64 v37, s[0:1], s0, v8
	v_addc_co_u32_e64 v38, s[0:1], v10, v9, s[0:1]
	global_load_dwordx4 v[16:19], v[37:38], off offset:128
	global_load_dwordx4 v[12:15], v[37:38], off offset:144
	;; [unrolled: 1-line block ×3, first 2 shown]
	s_waitcnt vmcnt(2) lgkmcnt(2)
	v_mul_f64 v[37:38], v[30:31], v[18:19]
	v_mul_f64 v[39:40], v[28:29], v[18:19]
	s_waitcnt vmcnt(1) lgkmcnt(1)
	v_mul_f64 v[48:49], v[34:35], v[14:15]
	v_mul_f64 v[50:51], v[32:33], v[14:15]
	;; [unrolled: 3-line block ×3, first 2 shown]
	v_fma_f64 v[28:29], v[28:29], v[16:17], -v[37:38]
	v_fma_f64 v[30:31], v[30:31], v[16:17], v[39:40]
	v_fma_f64 v[32:33], v[32:33], v[12:13], -v[48:49]
	v_fma_f64 v[34:35], v[34:35], v[12:13], v[50:51]
	;; [unrolled: 2-line block ×3, first 2 shown]
	v_add_f64 v[37:38], v[24:25], -v[32:33]
	v_add_f64 v[39:40], v[26:27], -v[34:35]
	;; [unrolled: 1-line block ×4, first 2 shown]
	v_fma_f64 v[24:25], v[24:25], 2.0, -v[37:38]
	v_fma_f64 v[26:27], v[26:27], 2.0, -v[39:40]
	;; [unrolled: 1-line block ×4, first 2 shown]
	v_add_f64 v[32:33], v[37:38], -v[22:23]
	v_add_f64 v[34:35], v[39:40], v[20:21]
	v_add_f64 v[28:29], v[24:25], -v[28:29]
	v_add_f64 v[30:31], v[26:27], -v[30:31]
	v_fma_f64 v[20:21], v[37:38], 2.0, -v[32:33]
	v_fma_f64 v[22:23], v[39:40], 2.0, -v[34:35]
	;; [unrolled: 1-line block ×4, first 2 shown]
	s_and_saveexec_b64 s[0:1], vcc
	s_cbranch_execz .LBB0_11
; %bb.10:
	v_lshl_add_u32 v37, v41, 4, v44
	ds_write_b128 v45, v[24:27]
	ds_write_b128 v37, v[20:23] offset:192
	ds_write_b128 v37, v[28:31] offset:384
	;; [unrolled: 1-line block ×3, first 2 shown]
.LBB0_11:
	s_or_b64 exec, exec, s[0:1]
	s_waitcnt lgkmcnt(0)
	; wave barrier
	s_waitcnt lgkmcnt(0)
	s_and_saveexec_b64 s[0:1], vcc
	s_cbranch_execz .LBB0_13
; %bb.12:
	global_load_dwordx4 v[48:51], v43, s[14:15] offset:768
	ds_read_b128 v[37:40], v45
	s_add_u32 s2, s14, 0x300
	s_addc_u32 s3, s15, 0
	v_lshl_add_u32 v56, v42, 4, v43
	s_waitcnt vmcnt(0) lgkmcnt(0)
	v_mul_f64 v[52:53], v[39:40], v[50:51]
	v_fma_f64 v[52:53], v[37:38], v[48:49], -v[52:53]
	v_mul_f64 v[37:38], v[37:38], v[50:51]
	v_fma_f64 v[54:55], v[39:40], v[48:49], v[37:38]
	global_load_dwordx4 v[48:51], v43, s[2:3] offset:192
	ds_write_b128 v45, v[52:55]
	ds_read_b128 v[37:40], v56 offset:192
	s_waitcnt vmcnt(0) lgkmcnt(0)
	v_mul_f64 v[52:53], v[39:40], v[50:51]
	v_fma_f64 v[52:53], v[37:38], v[48:49], -v[52:53]
	v_mul_f64 v[37:38], v[37:38], v[50:51]
	v_fma_f64 v[54:55], v[39:40], v[48:49], v[37:38]
	global_load_dwordx4 v[48:51], v43, s[2:3] offset:384
	ds_read_b128 v[37:40], v56 offset:384
	ds_write_b128 v56, v[52:55] offset:192
	s_waitcnt vmcnt(0) lgkmcnt(1)
	v_mul_f64 v[52:53], v[39:40], v[50:51]
	v_fma_f64 v[52:53], v[37:38], v[48:49], -v[52:53]
	v_mul_f64 v[37:38], v[37:38], v[50:51]
	v_fma_f64 v[54:55], v[39:40], v[48:49], v[37:38]
	global_load_dwordx4 v[48:51], v43, s[2:3] offset:576
	ds_read_b128 v[37:40], v56 offset:576
	ds_write_b128 v56, v[52:55] offset:384
	s_waitcnt vmcnt(0) lgkmcnt(1)
	v_mul_f64 v[52:53], v[39:40], v[50:51]
	v_fma_f64 v[52:53], v[37:38], v[48:49], -v[52:53]
	v_mul_f64 v[37:38], v[37:38], v[50:51]
	v_fma_f64 v[54:55], v[39:40], v[48:49], v[37:38]
	ds_write_b128 v56, v[52:55] offset:576
.LBB0_13:
	s_or_b64 exec, exec, s[0:1]
	s_waitcnt lgkmcnt(0)
	; wave barrier
	s_waitcnt lgkmcnt(0)
	s_and_saveexec_b64 s[0:1], vcc
	s_cbranch_execz .LBB0_15
; %bb.14:
	v_lshl_add_u32 v32, v41, 4, v44
	ds_read_b128 v[24:27], v45
	ds_read_b128 v[20:23], v32 offset:192
	ds_read_b128 v[28:31], v32 offset:384
	;; [unrolled: 1-line block ×3, first 2 shown]
.LBB0_15:
	s_or_b64 exec, exec, s[0:1]
	s_waitcnt lgkmcnt(1)
	v_add_f64 v[37:38], v[24:25], -v[28:29]
	v_add_f64 v[39:40], v[26:27], -v[30:31]
	s_waitcnt lgkmcnt(0)
	v_add_f64 v[34:35], v[22:23], -v[34:35]
	v_add_f64 v[32:33], v[20:21], -v[32:33]
	s_waitcnt lgkmcnt(0)
	; wave barrier
	v_add_f64 v[28:29], v[37:38], v[34:35]
	v_add_f64 v[30:31], v[39:40], -v[32:33]
	s_and_saveexec_b64 s[0:1], vcc
	s_cbranch_execz .LBB0_17
; %bb.16:
	v_fma_f64 v[48:49], v[26:27], 2.0, -v[39:40]
	v_fma_f64 v[22:23], v[22:23], 2.0, -v[34:35]
	;; [unrolled: 1-line block ×6, first 2 shown]
	v_add_lshl_u32 v37, v42, v46, 4
	v_add_f64 v[22:23], v[48:49], -v[22:23]
	v_add_f64 v[20:21], v[50:51], -v[20:21]
	v_fma_f64 v[34:35], v[48:49], 2.0, -v[22:23]
	v_fma_f64 v[32:33], v[50:51], 2.0, -v[20:21]
	ds_write_b128 v37, v[24:27] offset:16
	ds_write_b128 v37, v[20:23] offset:32
	ds_write_b128 v37, v[32:35]
	ds_write_b128 v37, v[28:31] offset:48
.LBB0_17:
	s_or_b64 exec, exec, s[0:1]
	s_waitcnt lgkmcnt(0)
	; wave barrier
	s_waitcnt lgkmcnt(0)
	ds_read_b128 v[20:23], v45 offset:256
	ds_read_b128 v[24:27], v45 offset:512
	s_mov_b32 s0, 0xe8584caa
	s_mov_b32 s1, 0xbfebb67a
	s_mov_b32 s3, 0x3febb67a
	s_waitcnt lgkmcnt(1)
	v_mul_f64 v[32:33], v[6:7], v[22:23]
	v_mul_f64 v[6:7], v[6:7], v[20:21]
	s_waitcnt lgkmcnt(0)
	v_mul_f64 v[34:35], v[2:3], v[26:27]
	v_mul_f64 v[2:3], v[2:3], v[24:25]
	s_mov_b32 s2, s0
	v_fma_f64 v[20:21], v[4:5], v[20:21], v[32:33]
	v_fma_f64 v[4:5], v[4:5], v[22:23], -v[6:7]
	v_fma_f64 v[6:7], v[0:1], v[24:25], v[34:35]
	v_fma_f64 v[22:23], v[0:1], v[26:27], -v[2:3]
	ds_read_b128 v[0:3], v45
	s_waitcnt lgkmcnt(0)
	; wave barrier
	s_waitcnt lgkmcnt(0)
	v_add_f64 v[32:33], v[0:1], v[20:21]
	v_add_f64 v[24:25], v[20:21], v[6:7]
	;; [unrolled: 1-line block ×3, first 2 shown]
	v_add_f64 v[34:35], v[4:5], -v[22:23]
	v_add_f64 v[4:5], v[2:3], v[4:5]
	v_add_f64 v[37:38], v[20:21], -v[6:7]
	v_fma_f64 v[20:21], v[24:25], -0.5, v[0:1]
	v_fma_f64 v[24:25], v[26:27], -0.5, v[2:3]
	v_add_f64 v[0:1], v[32:33], v[6:7]
	v_add_f64 v[2:3], v[4:5], v[22:23]
	v_fma_f64 v[4:5], v[34:35], s[0:1], v[20:21]
	v_fma_f64 v[20:21], v[34:35], s[2:3], v[20:21]
	;; [unrolled: 1-line block ×4, first 2 shown]
	ds_write_b128 v47, v[0:3]
	ds_write_b128 v47, v[4:7] offset:64
	ds_write_b128 v47, v[20:23] offset:128
	s_waitcnt lgkmcnt(0)
	; wave barrier
	s_waitcnt lgkmcnt(0)
	s_and_saveexec_b64 s[0:1], vcc
	s_cbranch_execz .LBB0_19
; %bb.18:
	ds_read_b128 v[0:3], v45
	ds_read_b128 v[4:7], v45 offset:192
	ds_read_b128 v[20:23], v45 offset:384
	;; [unrolled: 1-line block ×3, first 2 shown]
.LBB0_19:
	s_or_b64 exec, exec, s[0:1]
	s_and_saveexec_b64 s[0:1], vcc
	s_cbranch_execz .LBB0_21
; %bb.20:
	s_waitcnt lgkmcnt(1)
	v_mul_f64 v[24:25], v[14:15], v[20:21]
	v_mul_f64 v[26:27], v[18:19], v[6:7]
	;; [unrolled: 1-line block ×3, first 2 shown]
	s_waitcnt lgkmcnt(0)
	v_mul_f64 v[32:33], v[10:11], v[28:29]
	v_mul_f64 v[14:15], v[14:15], v[22:23]
	;; [unrolled: 1-line block ×3, first 2 shown]
	v_fma_f64 v[22:23], v[12:13], v[22:23], -v[24:25]
	v_fma_f64 v[4:5], v[16:17], v[4:5], v[26:27]
	v_fma_f64 v[6:7], v[16:17], v[6:7], -v[18:19]
	v_fma_f64 v[16:17], v[8:9], v[30:31], -v[32:33]
	v_fma_f64 v[12:13], v[12:13], v[20:21], v[14:15]
	v_fma_f64 v[8:9], v[8:9], v[28:29], v[10:11]
	v_add_f64 v[10:11], v[2:3], -v[22:23]
	v_add_f64 v[14:15], v[6:7], -v[16:17]
	;; [unrolled: 1-line block ×4, first 2 shown]
	v_fma_f64 v[12:13], v[2:3], 2.0, -v[10:11]
	v_fma_f64 v[6:7], v[6:7], 2.0, -v[14:15]
	;; [unrolled: 1-line block ×4, first 2 shown]
	v_add_f64 v[2:3], v[10:11], -v[8:9]
	v_add_f64 v[6:7], v[12:13], -v[6:7]
	;; [unrolled: 1-line block ×3, first 2 shown]
	v_add_f64 v[0:1], v[16:17], v[14:15]
	v_fma_f64 v[10:11], v[10:11], 2.0, -v[2:3]
	v_fma_f64 v[14:15], v[12:13], 2.0, -v[6:7]
	;; [unrolled: 1-line block ×4, first 2 shown]
	v_lshl_add_u32 v16, v41, 4, v44
	ds_write_b128 v45, v[12:15]
	ds_write_b128 v16, v[8:11] offset:192
	ds_write_b128 v16, v[4:7] offset:384
	;; [unrolled: 1-line block ×3, first 2 shown]
.LBB0_21:
	s_or_b64 exec, exec, s[0:1]
	s_waitcnt lgkmcnt(0)
	; wave barrier
	s_waitcnt lgkmcnt(0)
	s_and_b64 exec, exec, vcc
	s_cbranch_execz .LBB0_23
; %bb.22:
	global_load_dwordx4 v[0:3], v43, s[14:15]
	global_load_dwordx4 v[4:7], v43, s[14:15] offset:192
	global_load_dwordx4 v[8:11], v43, s[14:15] offset:384
	;; [unrolled: 1-line block ×3, first 2 shown]
	v_mad_u64_u32 v[32:33], s[0:1], s6, v36, 0
	v_mad_u64_u32 v[34:35], s[2:3], s4, v41, 0
	s_mul_i32 s2, s5, 0xc0
	s_mul_hi_u32 s3, s4, 0xc0
	s_add_i32 s6, s3, s2
	v_mad_u64_u32 v[36:37], s[2:3], s7, v36, v[33:34]
	v_mov_b32_e32 v39, s13
	v_lshl_add_u32 v28, v42, 4, v43
	v_mad_u64_u32 v[37:38], s[2:3], s5, v41, v[35:36]
	v_mov_b32_e32 v33, v36
	v_lshlrev_b64 v[32:33], 4, v[32:33]
	v_mov_b32_e32 v35, v37
	v_lshlrev_b64 v[34:35], 4, v[34:35]
	v_add_co_u32_e32 v32, vcc, s12, v32
	v_addc_co_u32_e32 v33, vcc, v39, v33, vcc
	v_add_co_u32_e32 v32, vcc, v32, v34
	s_mulk_i32 s4, 0xc0
	ds_read_b128 v[16:19], v45
	ds_read_b128 v[20:23], v28 offset:192
	v_addc_co_u32_e32 v33, vcc, v33, v35, vcc
	v_mov_b32_e32 v40, s6
	v_add_co_u32_e32 v34, vcc, s4, v32
	ds_read_b128 v[24:27], v28 offset:384
	ds_read_b128 v[28:31], v28 offset:576
	v_addc_co_u32_e32 v35, vcc, v33, v40, vcc
	v_mov_b32_e32 v38, s6
	v_add_co_u32_e32 v36, vcc, s4, v34
	v_addc_co_u32_e32 v37, vcc, v35, v38, vcc
	s_mov_b32 s0, 0x55555555
	s_mov_b32 s1, 0x3f955555
	v_mov_b32_e32 v46, s6
	s_waitcnt vmcnt(3) lgkmcnt(3)
	v_mul_f64 v[38:39], v[18:19], v[2:3]
	v_mul_f64 v[2:3], v[16:17], v[2:3]
	s_waitcnt vmcnt(2) lgkmcnt(2)
	v_mul_f64 v[40:41], v[22:23], v[6:7]
	v_mul_f64 v[6:7], v[20:21], v[6:7]
	;; [unrolled: 3-line block ×4, first 2 shown]
	v_fma_f64 v[16:17], v[16:17], v[0:1], v[38:39]
	v_fma_f64 v[2:3], v[0:1], v[18:19], -v[2:3]
	v_fma_f64 v[18:19], v[20:21], v[4:5], v[40:41]
	v_fma_f64 v[6:7], v[4:5], v[22:23], -v[6:7]
	;; [unrolled: 2-line block ×4, first 2 shown]
	v_mul_f64 v[0:1], v[16:17], s[0:1]
	v_mul_f64 v[2:3], v[2:3], s[0:1]
	v_mul_f64 v[4:5], v[18:19], s[0:1]
	v_mul_f64 v[6:7], v[6:7], s[0:1]
	v_mul_f64 v[8:9], v[20:21], s[0:1]
	v_mul_f64 v[10:11], v[10:11], s[0:1]
	v_mul_f64 v[12:13], v[22:23], s[0:1]
	v_mul_f64 v[14:15], v[14:15], s[0:1]
	v_add_co_u32_e32 v16, vcc, s4, v36
	v_addc_co_u32_e32 v17, vcc, v37, v46, vcc
	global_store_dwordx4 v[32:33], v[0:3], off
	global_store_dwordx4 v[34:35], v[4:7], off
	;; [unrolled: 1-line block ×4, first 2 shown]
.LBB0_23:
	s_endpgm
	.section	.rodata,"a",@progbits
	.p2align	6, 0x0
	.amdhsa_kernel bluestein_single_fwd_len48_dim1_dp_op_CI_CI
		.amdhsa_group_segment_fixed_size 3072
		.amdhsa_private_segment_fixed_size 0
		.amdhsa_kernarg_size 104
		.amdhsa_user_sgpr_count 6
		.amdhsa_user_sgpr_private_segment_buffer 1
		.amdhsa_user_sgpr_dispatch_ptr 0
		.amdhsa_user_sgpr_queue_ptr 0
		.amdhsa_user_sgpr_kernarg_segment_ptr 1
		.amdhsa_user_sgpr_dispatch_id 0
		.amdhsa_user_sgpr_flat_scratch_init 0
		.amdhsa_user_sgpr_private_segment_size 0
		.amdhsa_uses_dynamic_stack 0
		.amdhsa_system_sgpr_private_segment_wavefront_offset 0
		.amdhsa_system_sgpr_workgroup_id_x 1
		.amdhsa_system_sgpr_workgroup_id_y 0
		.amdhsa_system_sgpr_workgroup_id_z 0
		.amdhsa_system_sgpr_workgroup_info 0
		.amdhsa_system_vgpr_workitem_id 0
		.amdhsa_next_free_vgpr 57
		.amdhsa_next_free_sgpr 16
		.amdhsa_reserve_vcc 1
		.amdhsa_reserve_flat_scratch 0
		.amdhsa_float_round_mode_32 0
		.amdhsa_float_round_mode_16_64 0
		.amdhsa_float_denorm_mode_32 3
		.amdhsa_float_denorm_mode_16_64 3
		.amdhsa_dx10_clamp 1
		.amdhsa_ieee_mode 1
		.amdhsa_fp16_overflow 0
		.amdhsa_exception_fp_ieee_invalid_op 0
		.amdhsa_exception_fp_denorm_src 0
		.amdhsa_exception_fp_ieee_div_zero 0
		.amdhsa_exception_fp_ieee_overflow 0
		.amdhsa_exception_fp_ieee_underflow 0
		.amdhsa_exception_fp_ieee_inexact 0
		.amdhsa_exception_int_div_zero 0
	.end_amdhsa_kernel
	.text
.Lfunc_end0:
	.size	bluestein_single_fwd_len48_dim1_dp_op_CI_CI, .Lfunc_end0-bluestein_single_fwd_len48_dim1_dp_op_CI_CI
                                        ; -- End function
	.section	.AMDGPU.csdata,"",@progbits
; Kernel info:
; codeLenInByte = 3180
; NumSgprs: 20
; NumVgprs: 57
; ScratchSize: 0
; MemoryBound: 0
; FloatMode: 240
; IeeeMode: 1
; LDSByteSize: 3072 bytes/workgroup (compile time only)
; SGPRBlocks: 2
; VGPRBlocks: 14
; NumSGPRsForWavesPerEU: 20
; NumVGPRsForWavesPerEU: 57
; Occupancy: 4
; WaveLimiterHint : 1
; COMPUTE_PGM_RSRC2:SCRATCH_EN: 0
; COMPUTE_PGM_RSRC2:USER_SGPR: 6
; COMPUTE_PGM_RSRC2:TRAP_HANDLER: 0
; COMPUTE_PGM_RSRC2:TGID_X_EN: 1
; COMPUTE_PGM_RSRC2:TGID_Y_EN: 0
; COMPUTE_PGM_RSRC2:TGID_Z_EN: 0
; COMPUTE_PGM_RSRC2:TIDIG_COMP_CNT: 0
	.type	__hip_cuid_fb0102601388fbdb,@object ; @__hip_cuid_fb0102601388fbdb
	.section	.bss,"aw",@nobits
	.globl	__hip_cuid_fb0102601388fbdb
__hip_cuid_fb0102601388fbdb:
	.byte	0                               ; 0x0
	.size	__hip_cuid_fb0102601388fbdb, 1

	.ident	"AMD clang version 19.0.0git (https://github.com/RadeonOpenCompute/llvm-project roc-6.4.0 25133 c7fe45cf4b819c5991fe208aaa96edf142730f1d)"
	.section	".note.GNU-stack","",@progbits
	.addrsig
	.addrsig_sym __hip_cuid_fb0102601388fbdb
	.amdgpu_metadata
---
amdhsa.kernels:
  - .args:
      - .actual_access:  read_only
        .address_space:  global
        .offset:         0
        .size:           8
        .value_kind:     global_buffer
      - .actual_access:  read_only
        .address_space:  global
        .offset:         8
        .size:           8
        .value_kind:     global_buffer
      - .actual_access:  read_only
        .address_space:  global
        .offset:         16
        .size:           8
        .value_kind:     global_buffer
      - .actual_access:  read_only
        .address_space:  global
        .offset:         24
        .size:           8
        .value_kind:     global_buffer
      - .actual_access:  read_only
        .address_space:  global
        .offset:         32
        .size:           8
        .value_kind:     global_buffer
      - .offset:         40
        .size:           8
        .value_kind:     by_value
      - .address_space:  global
        .offset:         48
        .size:           8
        .value_kind:     global_buffer
      - .address_space:  global
        .offset:         56
        .size:           8
        .value_kind:     global_buffer
      - .address_space:  global
        .offset:         64
        .size:           8
        .value_kind:     global_buffer
      - .address_space:  global
        .offset:         72
        .size:           8
        .value_kind:     global_buffer
      - .offset:         80
        .size:           4
        .value_kind:     by_value
      - .address_space:  global
        .offset:         88
        .size:           8
        .value_kind:     global_buffer
      - .address_space:  global
        .offset:         96
        .size:           8
        .value_kind:     global_buffer
    .group_segment_fixed_size: 3072
    .kernarg_segment_align: 8
    .kernarg_segment_size: 104
    .language:       OpenCL C
    .language_version:
      - 2
      - 0
    .max_flat_workgroup_size: 64
    .name:           bluestein_single_fwd_len48_dim1_dp_op_CI_CI
    .private_segment_fixed_size: 0
    .sgpr_count:     20
    .sgpr_spill_count: 0
    .symbol:         bluestein_single_fwd_len48_dim1_dp_op_CI_CI.kd
    .uniform_work_group_size: 1
    .uses_dynamic_stack: false
    .vgpr_count:     57
    .vgpr_spill_count: 0
    .wavefront_size: 64
amdhsa.target:   amdgcn-amd-amdhsa--gfx906
amdhsa.version:
  - 1
  - 2
...

	.end_amdgpu_metadata
